;; amdgpu-corpus repo=ROCm/rocFFT kind=compiled arch=gfx1030 opt=O3
	.text
	.amdgcn_target "amdgcn-amd-amdhsa--gfx1030"
	.amdhsa_code_object_version 6
	.protected	fft_rtc_fwd_len572_factors_13_11_4_wgs_52_tpt_52_half_ip_CI_unitstride_sbrr_C2R_dirReg ; -- Begin function fft_rtc_fwd_len572_factors_13_11_4_wgs_52_tpt_52_half_ip_CI_unitstride_sbrr_C2R_dirReg
	.globl	fft_rtc_fwd_len572_factors_13_11_4_wgs_52_tpt_52_half_ip_CI_unitstride_sbrr_C2R_dirReg
	.p2align	8
	.type	fft_rtc_fwd_len572_factors_13_11_4_wgs_52_tpt_52_half_ip_CI_unitstride_sbrr_C2R_dirReg,@function
fft_rtc_fwd_len572_factors_13_11_4_wgs_52_tpt_52_half_ip_CI_unitstride_sbrr_C2R_dirReg: ; @fft_rtc_fwd_len572_factors_13_11_4_wgs_52_tpt_52_half_ip_CI_unitstride_sbrr_C2R_dirReg
; %bb.0:
	s_clause 0x2
	s_load_dwordx4 s[8:11], s[4:5], 0x0
	s_load_dwordx2 s[2:3], s[4:5], 0x50
	s_load_dwordx2 s[12:13], s[4:5], 0x18
	v_mul_u32_u24_e32 v1, 0x4ed, v0
	v_mov_b32_e32 v3, 0
	v_add_nc_u32_sdwa v5, s6, v1 dst_sel:DWORD dst_unused:UNUSED_PAD src0_sel:DWORD src1_sel:WORD_1
	v_mov_b32_e32 v1, 0
	v_mov_b32_e32 v6, v3
	v_mov_b32_e32 v2, 0
	s_waitcnt lgkmcnt(0)
	v_cmp_lt_u64_e64 s0, s[10:11], 2
	s_and_b32 vcc_lo, exec_lo, s0
	s_cbranch_vccnz .LBB0_8
; %bb.1:
	s_load_dwordx2 s[0:1], s[4:5], 0x10
	v_mov_b32_e32 v1, 0
	s_add_u32 s6, s12, 8
	v_mov_b32_e32 v2, 0
	s_addc_u32 s7, s13, 0
	s_mov_b64 s[16:17], 1
	s_waitcnt lgkmcnt(0)
	s_add_u32 s14, s0, 8
	s_addc_u32 s15, s1, 0
.LBB0_2:                                ; =>This Inner Loop Header: Depth=1
	s_load_dwordx2 s[18:19], s[14:15], 0x0
                                        ; implicit-def: $vgpr7_vgpr8
	s_mov_b32 s0, exec_lo
	s_waitcnt lgkmcnt(0)
	v_or_b32_e32 v4, s19, v6
	v_cmpx_ne_u64_e32 0, v[3:4]
	s_xor_b32 s1, exec_lo, s0
	s_cbranch_execz .LBB0_4
; %bb.3:                                ;   in Loop: Header=BB0_2 Depth=1
	v_cvt_f32_u32_e32 v4, s18
	v_cvt_f32_u32_e32 v7, s19
	s_sub_u32 s0, 0, s18
	s_subb_u32 s20, 0, s19
	v_fmac_f32_e32 v4, 0x4f800000, v7
	v_rcp_f32_e32 v4, v4
	v_mul_f32_e32 v4, 0x5f7ffffc, v4
	v_mul_f32_e32 v7, 0x2f800000, v4
	v_trunc_f32_e32 v7, v7
	v_fmac_f32_e32 v4, 0xcf800000, v7
	v_cvt_u32_f32_e32 v7, v7
	v_cvt_u32_f32_e32 v4, v4
	v_mul_lo_u32 v8, s0, v7
	v_mul_hi_u32 v9, s0, v4
	v_mul_lo_u32 v10, s20, v4
	v_add_nc_u32_e32 v8, v9, v8
	v_mul_lo_u32 v9, s0, v4
	v_add_nc_u32_e32 v8, v8, v10
	v_mul_hi_u32 v10, v4, v9
	v_mul_lo_u32 v11, v4, v8
	v_mul_hi_u32 v12, v4, v8
	v_mul_hi_u32 v13, v7, v9
	v_mul_lo_u32 v9, v7, v9
	v_mul_hi_u32 v14, v7, v8
	v_mul_lo_u32 v8, v7, v8
	v_add_co_u32 v10, vcc_lo, v10, v11
	v_add_co_ci_u32_e32 v11, vcc_lo, 0, v12, vcc_lo
	v_add_co_u32 v9, vcc_lo, v10, v9
	v_add_co_ci_u32_e32 v9, vcc_lo, v11, v13, vcc_lo
	v_add_co_ci_u32_e32 v10, vcc_lo, 0, v14, vcc_lo
	v_add_co_u32 v8, vcc_lo, v9, v8
	v_add_co_ci_u32_e32 v9, vcc_lo, 0, v10, vcc_lo
	v_add_co_u32 v4, vcc_lo, v4, v8
	v_add_co_ci_u32_e32 v7, vcc_lo, v7, v9, vcc_lo
	v_mul_hi_u32 v8, s0, v4
	v_mul_lo_u32 v10, s20, v4
	v_mul_lo_u32 v9, s0, v7
	v_add_nc_u32_e32 v8, v8, v9
	v_mul_lo_u32 v9, s0, v4
	v_add_nc_u32_e32 v8, v8, v10
	v_mul_hi_u32 v10, v4, v9
	v_mul_lo_u32 v11, v4, v8
	v_mul_hi_u32 v12, v4, v8
	v_mul_hi_u32 v13, v7, v9
	v_mul_lo_u32 v9, v7, v9
	v_mul_hi_u32 v14, v7, v8
	v_mul_lo_u32 v8, v7, v8
	v_add_co_u32 v10, vcc_lo, v10, v11
	v_add_co_ci_u32_e32 v11, vcc_lo, 0, v12, vcc_lo
	v_add_co_u32 v9, vcc_lo, v10, v9
	v_add_co_ci_u32_e32 v9, vcc_lo, v11, v13, vcc_lo
	v_add_co_ci_u32_e32 v10, vcc_lo, 0, v14, vcc_lo
	v_add_co_u32 v8, vcc_lo, v9, v8
	v_add_co_ci_u32_e32 v9, vcc_lo, 0, v10, vcc_lo
	v_add_co_u32 v4, vcc_lo, v4, v8
	v_add_co_ci_u32_e32 v11, vcc_lo, v7, v9, vcc_lo
	v_mul_hi_u32 v13, v5, v4
	v_mad_u64_u32 v[9:10], null, v6, v4, 0
	v_mad_u64_u32 v[7:8], null, v5, v11, 0
	;; [unrolled: 1-line block ×3, first 2 shown]
	v_add_co_u32 v4, vcc_lo, v13, v7
	v_add_co_ci_u32_e32 v7, vcc_lo, 0, v8, vcc_lo
	v_add_co_u32 v4, vcc_lo, v4, v9
	v_add_co_ci_u32_e32 v4, vcc_lo, v7, v10, vcc_lo
	v_add_co_ci_u32_e32 v7, vcc_lo, 0, v12, vcc_lo
	v_add_co_u32 v4, vcc_lo, v4, v11
	v_add_co_ci_u32_e32 v9, vcc_lo, 0, v7, vcc_lo
	v_mul_lo_u32 v10, s19, v4
	v_mad_u64_u32 v[7:8], null, s18, v4, 0
	v_mul_lo_u32 v11, s18, v9
	v_sub_co_u32 v7, vcc_lo, v5, v7
	v_add3_u32 v8, v8, v11, v10
	v_sub_nc_u32_e32 v10, v6, v8
	v_subrev_co_ci_u32_e64 v10, s0, s19, v10, vcc_lo
	v_add_co_u32 v11, s0, v4, 2
	v_add_co_ci_u32_e64 v12, s0, 0, v9, s0
	v_sub_co_u32 v13, s0, v7, s18
	v_sub_co_ci_u32_e32 v8, vcc_lo, v6, v8, vcc_lo
	v_subrev_co_ci_u32_e64 v10, s0, 0, v10, s0
	v_cmp_le_u32_e32 vcc_lo, s18, v13
	v_cmp_eq_u32_e64 s0, s19, v8
	v_cndmask_b32_e64 v13, 0, -1, vcc_lo
	v_cmp_le_u32_e32 vcc_lo, s19, v10
	v_cndmask_b32_e64 v14, 0, -1, vcc_lo
	v_cmp_le_u32_e32 vcc_lo, s18, v7
	;; [unrolled: 2-line block ×3, first 2 shown]
	v_cndmask_b32_e64 v15, 0, -1, vcc_lo
	v_cmp_eq_u32_e32 vcc_lo, s19, v10
	v_cndmask_b32_e64 v7, v15, v7, s0
	v_cndmask_b32_e32 v10, v14, v13, vcc_lo
	v_add_co_u32 v13, vcc_lo, v4, 1
	v_add_co_ci_u32_e32 v14, vcc_lo, 0, v9, vcc_lo
	v_cmp_ne_u32_e32 vcc_lo, 0, v10
	v_cndmask_b32_e32 v8, v14, v12, vcc_lo
	v_cndmask_b32_e32 v10, v13, v11, vcc_lo
	v_cmp_ne_u32_e32 vcc_lo, 0, v7
	v_cndmask_b32_e32 v8, v9, v8, vcc_lo
	v_cndmask_b32_e32 v7, v4, v10, vcc_lo
.LBB0_4:                                ;   in Loop: Header=BB0_2 Depth=1
	s_andn2_saveexec_b32 s0, s1
	s_cbranch_execz .LBB0_6
; %bb.5:                                ;   in Loop: Header=BB0_2 Depth=1
	v_cvt_f32_u32_e32 v4, s18
	s_sub_i32 s1, 0, s18
	v_rcp_iflag_f32_e32 v4, v4
	v_mul_f32_e32 v4, 0x4f7ffffe, v4
	v_cvt_u32_f32_e32 v4, v4
	v_mul_lo_u32 v7, s1, v4
	v_mul_hi_u32 v7, v4, v7
	v_add_nc_u32_e32 v4, v4, v7
	v_mul_hi_u32 v4, v5, v4
	v_mul_lo_u32 v7, v4, s18
	v_add_nc_u32_e32 v8, 1, v4
	v_sub_nc_u32_e32 v7, v5, v7
	v_subrev_nc_u32_e32 v9, s18, v7
	v_cmp_le_u32_e32 vcc_lo, s18, v7
	v_cndmask_b32_e32 v7, v7, v9, vcc_lo
	v_cndmask_b32_e32 v4, v4, v8, vcc_lo
	v_cmp_le_u32_e32 vcc_lo, s18, v7
	v_add_nc_u32_e32 v8, 1, v4
	v_cndmask_b32_e32 v7, v4, v8, vcc_lo
	v_mov_b32_e32 v8, v3
.LBB0_6:                                ;   in Loop: Header=BB0_2 Depth=1
	s_or_b32 exec_lo, exec_lo, s0
	s_load_dwordx2 s[0:1], s[6:7], 0x0
	v_mul_lo_u32 v4, v8, s18
	v_mul_lo_u32 v11, v7, s19
	v_mad_u64_u32 v[9:10], null, v7, s18, 0
	s_add_u32 s16, s16, 1
	s_addc_u32 s17, s17, 0
	s_add_u32 s6, s6, 8
	s_addc_u32 s7, s7, 0
	;; [unrolled: 2-line block ×3, first 2 shown]
	v_add3_u32 v4, v10, v11, v4
	v_sub_co_u32 v5, vcc_lo, v5, v9
	v_sub_co_ci_u32_e32 v4, vcc_lo, v6, v4, vcc_lo
	s_waitcnt lgkmcnt(0)
	v_mul_lo_u32 v6, s1, v5
	v_mul_lo_u32 v4, s0, v4
	v_mad_u64_u32 v[1:2], null, s0, v5, v[1:2]
	v_cmp_ge_u64_e64 s0, s[16:17], s[10:11]
	s_and_b32 vcc_lo, exec_lo, s0
	v_add3_u32 v2, v6, v2, v4
	s_cbranch_vccnz .LBB0_9
; %bb.7:                                ;   in Loop: Header=BB0_2 Depth=1
	v_mov_b32_e32 v5, v7
	v_mov_b32_e32 v6, v8
	s_branch .LBB0_2
.LBB0_8:
	v_mov_b32_e32 v8, v6
	v_mov_b32_e32 v7, v5
.LBB0_9:
	s_lshl_b64 s[0:1], s[10:11], 3
	v_mul_hi_u32 v5, 0x4ec4ec5, v0
	s_add_u32 s0, s12, s0
	s_addc_u32 s1, s13, s1
	s_load_dwordx2 s[0:1], s[0:1], 0x0
	s_load_dwordx2 s[4:5], s[4:5], 0x20
	s_waitcnt lgkmcnt(0)
	v_mul_lo_u32 v3, s0, v8
	v_mul_lo_u32 v4, s1, v7
	v_mad_u64_u32 v[1:2], null, s0, v7, v[1:2]
	v_cmp_gt_u64_e32 vcc_lo, s[4:5], v[7:8]
	v_add3_u32 v2, v4, v2, v3
	v_mul_u32_u24_e32 v4, 52, v5
	v_lshlrev_b64 v[2:3], 2, v[1:2]
	v_sub_nc_u32_e32 v0, v0, v4
	s_and_saveexec_b32 s1, vcc_lo
	s_cbranch_execz .LBB0_13
; %bb.10:
	v_mov_b32_e32 v1, 0
	v_add_co_u32 v4, s0, s2, v2
	v_add_co_ci_u32_e64 v5, s0, s3, v3, s0
	v_lshlrev_b64 v[6:7], 2, v[0:1]
	s_mov_b32 s4, exec_lo
	v_add_co_u32 v6, s0, v4, v6
	v_add_co_ci_u32_e64 v7, s0, v5, v7, s0
	v_add_co_u32 v8, s0, 0x800, v6
	v_add_co_ci_u32_e64 v9, s0, 0, v7, s0
	s_clause 0xa
	global_load_dword v10, v[6:7], off
	global_load_dword v11, v[6:7], off offset:208
	global_load_dword v12, v[6:7], off offset:416
	;; [unrolled: 1-line block ×10, first 2 shown]
	v_lshl_add_u32 v8, v0, 2, 0
	v_add_nc_u32_e32 v9, 0x200, v8
	v_add_nc_u32_e32 v19, 0x400, v8
	s_waitcnt vmcnt(9)
	ds_write2_b32 v8, v10, v11 offset1:52
	s_waitcnt vmcnt(7)
	ds_write2_b32 v8, v12, v13 offset0:104 offset1:156
	s_waitcnt vmcnt(5)
	ds_write2_b32 v9, v14, v15 offset0:80 offset1:132
	;; [unrolled: 2-line block ×4, first 2 shown]
	s_waitcnt vmcnt(0)
	ds_write_b32 v8, v7 offset:2080
	v_cmpx_eq_u32_e32 51, v0
	s_cbranch_execz .LBB0_12
; %bb.11:
	v_add_co_u32 v4, s0, 0x800, v4
	v_add_co_ci_u32_e64 v5, s0, 0, v5, s0
	v_mov_b32_e32 v0, 51
	global_load_dword v4, v[4:5], off offset:240
	s_waitcnt vmcnt(0)
	ds_write_b32 v1, v4 offset:2288
.LBB0_12:
	s_or_b32 exec_lo, exec_lo, s4
.LBB0_13:
	s_or_b32 exec_lo, exec_lo, s1
	v_lshlrev_b32_e32 v1, 2, v0
	s_waitcnt lgkmcnt(0)
	s_barrier
	buffer_gl0_inv
	s_add_u32 s1, s8, 0x8bc
	v_add_nc_u32_e32 v18, 0, v1
	v_sub_nc_u32_e32 v6, 0, v1
	s_addc_u32 s4, s9, 0
	s_mov_b32 s5, exec_lo
	ds_read_u16 v1, v18
	ds_read_u16 v4, v6 offset:2288
	s_waitcnt lgkmcnt(0)
	v_add_f16_e32 v8, v4, v1
	v_sub_f16_e32 v7, v1, v4
                                        ; implicit-def: $vgpr4_vgpr5
	v_cmpx_ne_u32_e32 0, v0
	s_xor_b32 s5, exec_lo, s5
	s_cbranch_execz .LBB0_15
; %bb.14:
	v_mov_b32_e32 v1, 0
	v_lshlrev_b64 v[4:5], 2, v[0:1]
	v_add_co_u32 v4, s0, s1, v4
	v_add_co_ci_u32_e64 v5, s0, s4, v5, s0
	global_load_dword v4, v[4:5], off
	ds_read_u16 v5, v6 offset:2290
	ds_read_u16 v9, v18 offset:2
	s_waitcnt lgkmcnt(0)
	v_add_f16_e32 v10, v5, v9
	v_sub_f16_e32 v5, v9, v5
	s_waitcnt vmcnt(0)
	v_lshrrev_b32_e32 v11, 16, v4
	v_fma_f16 v9, v7, v11, v8
	v_fma_f16 v12, v10, v11, v5
	v_fma_f16 v8, -v7, v11, v8
	v_fma_f16 v5, v10, v11, -v5
	v_fma_f16 v9, -v4, v10, v9
	v_fmac_f16_e32 v12, v7, v4
	v_fmac_f16_e32 v8, v4, v10
	;; [unrolled: 1-line block ×3, first 2 shown]
	v_pack_b32_f16 v7, v9, v12
	v_pack_b32_f16 v8, v8, v5
	v_mov_b32_e32 v5, v1
	v_mov_b32_e32 v4, v0
	ds_write_b32 v18, v7
	ds_write_b32 v6, v8 offset:2288
                                        ; implicit-def: $vgpr8
                                        ; implicit-def: $vgpr7
.LBB0_15:
	s_andn2_saveexec_b32 s0, s5
	s_cbranch_execz .LBB0_17
; %bb.16:
	v_pack_b32_f16 v1, v8, v7
	v_mov_b32_e32 v7, 0
	v_mov_b32_e32 v4, 0
	;; [unrolled: 1-line block ×3, first 2 shown]
	ds_write_b32 v18, v1
	ds_read_b32 v1, v7 offset:1144
	s_waitcnt lgkmcnt(0)
	v_pk_mul_f16 v1, 0xc0004000, v1
	ds_write_b32 v7, v1 offset:1144
.LBB0_17:
	s_or_b32 exec_lo, exec_lo, s0
	v_lshlrev_b64 v[4:5], 2, v[4:5]
	v_add_co_u32 v4, s0, s1, v4
	v_add_co_ci_u32_e64 v5, s0, s4, v5, s0
	s_mov_b32 s1, exec_lo
	s_clause 0x3
	global_load_dword v1, v[4:5], off offset:208
	global_load_dword v7, v[4:5], off offset:416
	;; [unrolled: 1-line block ×4, first 2 shown]
	ds_read_b32 v10, v18 offset:208
	ds_read_b32 v11, v6 offset:2080
	s_waitcnt lgkmcnt(0)
	v_add_f16_e32 v12, v10, v11
	v_add_f16_sdwa v13, v11, v10 dst_sel:DWORD dst_unused:UNUSED_PAD src0_sel:WORD_1 src1_sel:WORD_1
	v_sub_f16_e32 v14, v10, v11
	v_sub_f16_sdwa v10, v10, v11 dst_sel:DWORD dst_unused:UNUSED_PAD src0_sel:WORD_1 src1_sel:WORD_1
	s_waitcnt vmcnt(3)
	v_lshrrev_b32_e32 v15, 16, v1
	v_fma_f16 v11, v14, v15, v12
	v_fma_f16 v16, v13, v15, v10
	v_fma_f16 v12, -v14, v15, v12
	v_fma_f16 v10, v13, v15, -v10
	v_fma_f16 v11, -v1, v13, v11
	v_fmac_f16_e32 v16, v14, v1
	v_fmac_f16_e32 v12, v1, v13
	;; [unrolled: 1-line block ×3, first 2 shown]
	v_pack_b32_f16 v1, v11, v16
	s_waitcnt vmcnt(2)
	v_lshrrev_b32_e32 v11, 16, v7
	v_pack_b32_f16 v10, v12, v10
	ds_write_b32 v18, v1 offset:208
	ds_write_b32 v6, v10 offset:2080
	ds_read_b32 v1, v18 offset:416
	ds_read_b32 v10, v6 offset:1872
	s_waitcnt lgkmcnt(0)
	v_add_f16_e32 v12, v1, v10
	v_add_f16_sdwa v13, v10, v1 dst_sel:DWORD dst_unused:UNUSED_PAD src0_sel:WORD_1 src1_sel:WORD_1
	v_sub_f16_e32 v14, v1, v10
	v_sub_f16_sdwa v1, v1, v10 dst_sel:DWORD dst_unused:UNUSED_PAD src0_sel:WORD_1 src1_sel:WORD_1
	v_fma_f16 v10, v14, v11, v12
	v_fma_f16 v15, v13, v11, v1
	v_fma_f16 v12, -v14, v11, v12
	v_fma_f16 v1, v13, v11, -v1
	v_fma_f16 v10, -v7, v13, v10
	v_fmac_f16_e32 v15, v14, v7
	v_fmac_f16_e32 v12, v7, v13
	;; [unrolled: 1-line block ×3, first 2 shown]
	v_pack_b32_f16 v7, v10, v15
	s_waitcnt vmcnt(1)
	v_lshrrev_b32_e32 v10, 16, v8
	v_pack_b32_f16 v1, v12, v1
	ds_write_b32 v18, v7 offset:416
	ds_write_b32 v6, v1 offset:1872
	ds_read_b32 v1, v18 offset:624
	ds_read_b32 v7, v6 offset:1664
	s_waitcnt lgkmcnt(0)
	v_add_f16_e32 v11, v1, v7
	v_add_f16_sdwa v12, v7, v1 dst_sel:DWORD dst_unused:UNUSED_PAD src0_sel:WORD_1 src1_sel:WORD_1
	v_sub_f16_e32 v13, v1, v7
	v_sub_f16_sdwa v1, v1, v7 dst_sel:DWORD dst_unused:UNUSED_PAD src0_sel:WORD_1 src1_sel:WORD_1
	v_fma_f16 v7, v13, v10, v11
	v_fma_f16 v14, v12, v10, v1
	v_fma_f16 v11, -v13, v10, v11
	v_fma_f16 v1, v12, v10, -v1
	v_fma_f16 v7, -v8, v12, v7
	v_fmac_f16_e32 v14, v13, v8
	v_fmac_f16_e32 v11, v8, v12
	;; [unrolled: 1-line block ×3, first 2 shown]
	s_waitcnt vmcnt(0)
	v_lshrrev_b32_e32 v8, 16, v9
	v_pack_b32_f16 v7, v7, v14
	v_pack_b32_f16 v1, v11, v1
	ds_write_b32 v18, v7 offset:624
	ds_write_b32 v6, v1 offset:1664
	ds_read_b32 v1, v18 offset:832
	ds_read_b32 v7, v6 offset:1456
	s_waitcnt lgkmcnt(0)
	v_add_f16_e32 v10, v1, v7
	v_add_f16_sdwa v11, v7, v1 dst_sel:DWORD dst_unused:UNUSED_PAD src0_sel:WORD_1 src1_sel:WORD_1
	v_sub_f16_e32 v12, v1, v7
	v_sub_f16_sdwa v1, v1, v7 dst_sel:DWORD dst_unused:UNUSED_PAD src0_sel:WORD_1 src1_sel:WORD_1
	v_fma_f16 v7, v12, v8, v10
	v_fma_f16 v13, v11, v8, v1
	v_fma_f16 v10, -v12, v8, v10
	v_fma_f16 v1, v11, v8, -v1
	v_fma_f16 v7, -v9, v11, v7
	v_fmac_f16_e32 v13, v12, v9
	v_fmac_f16_e32 v10, v9, v11
	;; [unrolled: 1-line block ×3, first 2 shown]
	v_pack_b32_f16 v7, v7, v13
	v_pack_b32_f16 v1, v10, v1
	ds_write_b32 v18, v7 offset:832
	ds_write_b32 v6, v1 offset:1456
	v_cmpx_gt_u32_e32 26, v0
	s_cbranch_execz .LBB0_19
; %bb.18:
	global_load_dword v1, v[4:5], off offset:1040
	ds_read_b32 v4, v18 offset:1040
	ds_read_b32 v5, v6 offset:1248
	s_waitcnt lgkmcnt(0)
	v_add_f16_e32 v7, v4, v5
	v_add_f16_sdwa v8, v5, v4 dst_sel:DWORD dst_unused:UNUSED_PAD src0_sel:WORD_1 src1_sel:WORD_1
	v_sub_f16_e32 v9, v4, v5
	v_sub_f16_sdwa v4, v4, v5 dst_sel:DWORD dst_unused:UNUSED_PAD src0_sel:WORD_1 src1_sel:WORD_1
	s_waitcnt vmcnt(0)
	v_lshrrev_b32_e32 v10, 16, v1
	v_fma_f16 v5, v9, v10, v7
	v_fma_f16 v11, v8, v10, v4
	v_fma_f16 v7, -v9, v10, v7
	v_fma_f16 v4, v8, v10, -v4
	v_fma_f16 v5, -v1, v8, v5
	v_fmac_f16_e32 v11, v9, v1
	v_fmac_f16_e32 v7, v1, v8
	;; [unrolled: 1-line block ×3, first 2 shown]
	v_pack_b32_f16 v1, v5, v11
	v_pack_b32_f16 v4, v7, v4
	ds_write_b32 v18, v1 offset:1040
	ds_write_b32 v6, v4 offset:1248
.LBB0_19:
	s_or_b32 exec_lo, exec_lo, s1
	s_waitcnt lgkmcnt(0)
	s_barrier
	buffer_gl0_inv
	s_barrier
	buffer_gl0_inv
	ds_read_b32 v20, v18 offset:2112
	ds_read2_b32 v[6:7], v18 offset1:44
	v_add_nc_u32_e32 v19, 0x400, v18
	ds_read2_b32 v[14:15], v18 offset0:88 offset1:132
	ds_read2_b32 v[8:9], v19 offset0:184 offset1:228
	;; [unrolled: 1-line block ×4, first 2 shown]
	v_mov_b32_e32 v34, 0xba95
	v_mov_b32_e32 v33, 0xbb7b
	v_mov_b32_e32 v32, 0xb3a8
	ds_read2_b32 v[16:17], v19 offset0:8 offset1:52
	v_mov_b32_e32 v1, 0x394e
	v_mov_b32_e32 v54, 0x3bf1
	;; [unrolled: 1-line block ×3, first 2 shown]
	s_mov_b32 s1, exec_lo
	s_waitcnt lgkmcnt(0)
	s_barrier
	buffer_gl0_inv
	v_pk_add_f16 v4, v7, v20 neg_lo:[0,1] neg_hi:[0,1]
	v_pk_add_f16 v25, v20, v7
	v_pk_add_f16 v23, v14, v9 neg_lo:[0,1] neg_hi:[0,1]
	v_pk_add_f16 v29, v9, v14
	v_mul_f16_sdwa v45, v4, v34 dst_sel:DWORD dst_unused:UNUSED_PAD src0_sel:WORD_1 src1_sel:DWORD
	v_lshrrev_b32_e32 v37, 16, v25
	v_mul_f16_e32 v50, 0xba95, v4
	v_pk_add_f16 v22, v15, v8 neg_lo:[0,1] neg_hi:[0,1]
	v_mul_f16_sdwa v47, v23, v33 dst_sel:DWORD dst_unused:UNUSED_PAD src0_sel:WORD_1 src1_sel:DWORD
	v_fmamk_f16 v5, v25, 0x388b, v45
	v_pk_add_f16 v27, v8, v15
	v_pk_add_f16 v21, v12, v11 neg_lo:[0,1] neg_hi:[0,1]
	v_fma_f16 v24, v37, 0x388b, -v50
	v_lshrrev_b32_e32 v39, 16, v29
	v_mul_f16_e32 v51, 0xbb7b, v23
	v_mul_f16_sdwa v46, v22, v32 dst_sel:DWORD dst_unused:UNUSED_PAD src0_sel:WORD_1 src1_sel:DWORD
	v_add_f16_e32 v5, v6, v5
	v_fmamk_f16 v26, v29, 0xb5ac, v47
	v_lshrrev_b32_e32 v38, 16, v27
	v_add_f16_sdwa v24, v6, v24 dst_sel:DWORD dst_unused:UNUSED_PAD src0_sel:WORD_1 src1_sel:DWORD
	v_fma_f16 v30, v39, 0xb5ac, -v51
	v_fmamk_f16 v31, v27, 0xbbc4, v46
	v_add_f16_e32 v5, v26, v5
	v_mul_f16_e32 v52, 0xb3a8, v22
	v_pk_add_f16 v28, v11, v12
	v_mul_f16_sdwa v44, v21, v1 dst_sel:DWORD dst_unused:UNUSED_PAD src0_sel:WORD_1 src1_sel:DWORD
	v_add_f16_e32 v1, v30, v24
	v_add_f16_e32 v5, v31, v5
	v_fma_f16 v26, v38, 0xbbc4, -v52
	v_lshrrev_b32_e32 v40, 16, v28
	v_mul_f16_e32 v48, 0x394e, v21
	v_fmamk_f16 v31, v28, 0xb9fd, v44
	v_pk_add_f16 v24, v13, v10 neg_lo:[0,1] neg_hi:[0,1]
	v_pk_add_f16 v30, v10, v13
	v_add_f16_e32 v1, v26, v1
	v_fma_f16 v35, v40, 0xb9fd, -v48
	v_add_f16_e32 v5, v31, v5
	v_mul_f16_sdwa v41, v24, v54 dst_sel:DWORD dst_unused:UNUSED_PAD src0_sel:WORD_1 src1_sel:DWORD
	v_lshrrev_b32_e32 v36, 16, v30
	v_mul_f16_e32 v49, 0x3bf1, v24
	v_pk_add_f16 v26, v16, v17 neg_lo:[0,1] neg_hi:[0,1]
	v_pk_add_f16 v31, v17, v16
	v_add_f16_e32 v1, v35, v1
	v_fmamk_f16 v55, v30, 0x2fb7, v41
	v_fma_f16 v56, v36, 0x2fb7, -v49
	v_mul_f16_sdwa v42, v26, v53 dst_sel:DWORD dst_unused:UNUSED_PAD src0_sel:WORD_1 src1_sel:DWORD
	v_lshrrev_b32_e32 v35, 16, v31
	v_mul_f16_e32 v43, 0x3770, v26
	v_add_f16_e32 v5, v55, v5
	v_add_f16_e32 v1, v56, v1
	v_fmamk_f16 v55, v31, 0x3b15, v42
	v_fma_f16 v56, v35, 0x3b15, -v43
	v_add_f16_e32 v5, v55, v5
	v_add_f16_e32 v1, v56, v1
	v_cmpx_gt_u32_e32 44, v0
	s_cbranch_execz .LBB0_21
; %bb.20:
	v_mov_b32_e32 v55, 0xbbf1
	v_mul_f16_e32 v56, 0xb5ac, v37
	v_mul_f16_e32 v57, 0xb9fd, v39
	v_mul_f16_sdwa v58, v23, v32 dst_sel:DWORD dst_unused:UNUSED_PAD src0_sel:WORD_1 src1_sel:DWORD
	v_mov_b32_e32 v61, 0x3b7b
	v_mul_f16_sdwa v60, v4, v55 dst_sel:DWORD dst_unused:UNUSED_PAD src0_sel:WORD_1 src1_sel:DWORD
	v_fmamk_f16 v64, v4, 0x3b7b, v56
	v_mul_f16_e32 v59, 0x3b15, v38
	v_fmamk_f16 v66, v23, 0xb94e, v57
	v_fmamk_f16 v67, v29, 0xbbc4, v58
	;; [unrolled: 1-line block ×3, first 2 shown]
	v_mul_f16_sdwa v61, v22, v61 dst_sel:DWORD dst_unused:UNUSED_PAD src0_sel:WORD_1 src1_sel:DWORD
	v_add_f16_sdwa v64, v6, v64 dst_sel:DWORD dst_unused:UNUSED_PAD src0_sel:WORD_1 src1_sel:DWORD
	v_mul_f16_e32 v62, 0x2fb7, v40
	v_mul_f16_sdwa v63, v21, v53 dst_sel:DWORD dst_unused:UNUSED_PAD src0_sel:WORD_1 src1_sel:DWORD
	v_add_f16_e32 v65, v6, v65
	v_fmamk_f16 v69, v22, 0xb770, v59
	v_fmamk_f16 v70, v27, 0xb5ac, v61
	v_add_f16_e32 v64, v66, v64
	v_mul_f16_e32 v68, 0xbbc4, v36
	v_add_f16_e32 v65, v67, v65
	v_mul_f16_sdwa v66, v24, v34 dst_sel:DWORD dst_unused:UNUSED_PAD src0_sel:WORD_1 src1_sel:DWORD
	v_fmamk_f16 v67, v21, 0x3bf1, v62
	v_fmamk_f16 v71, v28, 0x3b15, v63
	v_add_f16_e32 v64, v69, v64
	v_add_f16_e32 v65, v70, v65
	v_mul_f16_e32 v69, 0xb9fd, v37
	v_fmamk_f16 v70, v24, 0xb3a8, v68
	v_fmamk_f16 v72, v30, 0x388b, v66
	v_add_f16_e32 v64, v67, v64
	v_add_f16_e32 v65, v71, v65
	v_mul_f16_e32 v67, 0x388b, v35
	v_mov_b32_e32 v71, 0xb94e
	v_fmamk_f16 v73, v4, 0x394e, v69
	v_add_f16_e32 v64, v70, v64
	v_add_f16_e32 v65, v72, v65
	v_mul_f16_e32 v70, 0x2fb7, v39
	v_fmamk_f16 v72, v26, 0xba95, v67
	v_mul_f16_sdwa v74, v4, v71 dst_sel:DWORD dst_unused:UNUSED_PAD src0_sel:WORD_1 src1_sel:DWORD
	v_add_f16_sdwa v73, v6, v73 dst_sel:DWORD dst_unused:UNUSED_PAD src0_sel:WORD_1 src1_sel:DWORD
	v_mul_f16_sdwa v54, v23, v54 dst_sel:DWORD dst_unused:UNUSED_PAD src0_sel:WORD_1 src1_sel:DWORD
	v_fmamk_f16 v76, v23, 0xbbf1, v70
	v_add_f16_e32 v64, v72, v64
	v_fmamk_f16 v72, v25, 0xb9fd, v74
	v_mov_b32_e32 v80, 0x33a8
	v_fmamk_f16 v78, v29, 0x2fb7, v54
	v_add_f16_e32 v73, v76, v73
	v_mul_f16_e32 v76, 0x388b, v38
	v_add_f16_e32 v72, v6, v72
	v_fmac_f16_e32 v69, 0xb94e, v4
	v_fmac_f16_e32 v70, 0x3bf1, v23
	v_mul_f16_sdwa v75, v26, v71 dst_sel:DWORD dst_unused:UNUSED_PAD src0_sel:WORD_1 src1_sel:DWORD
	v_fmamk_f16 v81, v22, 0x3a95, v76
	v_add_f16_e32 v72, v78, v72
	v_mul_f16_sdwa v78, v21, v80 dst_sel:DWORD dst_unused:UNUSED_PAD src0_sel:WORD_1 src1_sel:DWORD
	v_mul_f16_e32 v80, 0xbbc4, v40
	v_add_f16_sdwa v69, v6, v69 dst_sel:DWORD dst_unused:UNUSED_PAD src0_sel:WORD_1 src1_sel:DWORD
	v_add_f16_e32 v73, v81, v73
	v_fmamk_f16 v77, v31, 0xb9fd, v75
	v_mul_f16_sdwa v79, v22, v34 dst_sel:DWORD dst_unused:UNUSED_PAD src0_sel:WORD_1 src1_sel:DWORD
	v_fmamk_f16 v81, v21, 0xb3a8, v80
	v_add_f16_e32 v69, v70, v69
	v_fma_f16 v54, v29, 0x2fb7, -v54
	v_add_f16_e32 v65, v77, v65
	v_fmamk_f16 v77, v27, 0x388b, v79
	v_add_f16_e32 v70, v81, v73
	v_fma_f16 v73, v25, 0xb9fd, -v74
	v_fmac_f16_e32 v56, 0xbb7b, v4
	v_mul_f16_sdwa v53, v24, v53 dst_sel:DWORD dst_unused:UNUSED_PAD src0_sel:WORD_1 src1_sel:DWORD
	v_add_f16_e32 v72, v77, v72
	v_fmamk_f16 v77, v28, 0xbbc4, v78
	v_add_f16_e32 v73, v6, v73
	v_add_f16_sdwa v56, v6, v56 dst_sel:DWORD dst_unused:UNUSED_PAD src0_sel:WORD_1 src1_sel:DWORD
	v_fmac_f16_e32 v57, 0x394e, v23
	v_fmac_f16_e32 v59, 0x3770, v22
	v_add_f16_e32 v72, v77, v72
	v_add_f16_e32 v54, v54, v73
	v_fma_f16 v73, v27, 0x388b, -v79
	v_fmamk_f16 v77, v30, 0x3b15, v53
	v_add_f16_e32 v56, v57, v56
	v_fma_f16 v53, v30, 0x3b15, -v53
	v_fma_f16 v57, v25, 0x2fb7, -v60
	v_add_f16_e32 v54, v73, v54
	v_fma_f16 v73, v28, 0xbbc4, -v78
	v_add_f16_e32 v56, v59, v56
	v_mul_f16_e32 v59, 0x388b, v37
	v_pk_add_f16 v7, v6, v7
	v_mul_f16_sdwa v82, v26, v33 dst_sel:DWORD dst_unused:UNUSED_PAD src0_sel:WORD_1 src1_sel:DWORD
	v_add_f16_e32 v54, v73, v54
	v_mul_f16_sdwa v33, v21, v33 dst_sel:DWORD dst_unused:UNUSED_PAD src0_sel:WORD_1 src1_sel:DWORD
	v_add_f16_e32 v50, v50, v59
	v_fma_f16 v59, v28, 0x3b15, -v63
	v_pk_add_f16 v7, v7, v14
	v_add_f16_e32 v53, v53, v54
	v_add_f16_e32 v54, v6, v57
	v_fma_f16 v57, v29, 0xbbc4, -v58
	v_add_f16_sdwa v50, v6, v50 dst_sel:DWORD dst_unused:UNUSED_PAD src0_sel:WORD_1 src1_sel:DWORD
	v_pk_add_f16 v7, v7, v15
	v_mul_f16_e32 v15, 0xb770, v4
	v_fmac_f16_e32 v76, 0xba95, v22
	v_add_f16_e32 v54, v57, v54
	v_fma_f16 v57, v27, 0xb5ac, -v61
	v_mul_f16_e32 v61, 0xb5ac, v39
	v_pk_add_f16 v7, v7, v12
	v_fmamk_f16 v12, v37, 0x3b15, v15
	v_fma_f16 v15, v37, 0x3b15, -v15
	v_add_f16_e32 v54, v57, v54
	v_add_f16_e32 v51, v51, v61
	v_mul_f16_e32 v57, 0xbbc4, v38
	v_pk_add_f16 v7, v7, v13
	v_add_f16_sdwa v12, v6, v12 dst_sel:DWORD dst_unused:UNUSED_PAD src0_sel:WORD_1 src1_sel:DWORD
	v_add_f16_sdwa v15, v6, v15 dst_sel:DWORD dst_unused:UNUSED_PAD src0_sel:WORD_1 src1_sel:DWORD
	v_add_f16_e32 v50, v51, v50
	v_add_f16_e32 v51, v52, v57
	;; [unrolled: 1-line block ×3, first 2 shown]
	v_mul_f16_e32 v54, 0x388b, v25
	v_mul_f16_e32 v57, 0xb9fd, v40
	v_pk_add_f16 v7, v7, v16
	v_add_f16_e32 v50, v51, v50
	v_mul_f16_e32 v51, 0xb5ac, v29
	v_sub_f16_e32 v45, v54, v45
	v_add_f16_e32 v48, v48, v57
	v_mul_f16_e32 v54, 0x2fb7, v36
	v_pk_add_f16 v7, v7, v17
	v_sub_f16_e32 v47, v51, v47
	v_add_f16_e32 v45, v6, v45
	v_mul_f16_e32 v51, 0xbbc4, v27
	v_add_f16_e32 v48, v48, v50
	v_add_f16_e32 v49, v49, v54
	v_pk_add_f16 v7, v7, v10
	v_add_f16_e32 v45, v47, v45
	v_sub_f16_e32 v46, v51, v46
	v_mul_f16_e32 v47, 0xb9fd, v28
	v_mul_f16_e32 v51, 0x3b15, v35
	v_mul_f16_sdwa v10, v23, v34 dst_sel:DWORD dst_unused:UNUSED_PAD src0_sel:WORD_1 src1_sel:DWORD
	v_pk_add_f16 v7, v7, v11
	v_add_f16_e32 v45, v46, v45
	v_sub_f16_e32 v44, v47, v44
	v_add_f16_e32 v14, v43, v51
	v_mul_f16_e32 v43, 0x2fb7, v30
	v_add_f16_e32 v46, v49, v48
	v_fma_f16 v11, v29, 0x388b, -v10
	v_add_f16_e32 v44, v44, v45
	v_mul_f16_e32 v45, 0x3b15, v31
	v_sub_f16_e32 v41, v43, v41
	v_mul_f16_e32 v43, 0xba95, v23
	v_add_f16_e32 v14, v14, v46
	v_mul_f16_sdwa v46, v22, v55 dst_sel:DWORD dst_unused:UNUSED_PAD src0_sel:WORD_1 src1_sel:DWORD
	v_sub_f16_e32 v42, v45, v42
	v_add_f16_e32 v41, v41, v44
	v_fmamk_f16 v13, v39, 0x388b, v43
	v_mul_f16_e32 v44, 0xbbf1, v22
	v_mov_b32_e32 v45, 0xb770
	v_fma_f16 v39, v39, 0x388b, -v43
	v_add_f16_e32 v17, v42, v41
	v_add_f16_e32 v12, v13, v12
	v_fmamk_f16 v13, v38, 0x2fb7, v44
	v_mul_f16_sdwa v45, v4, v45 dst_sel:DWORD dst_unused:UNUSED_PAD src0_sel:WORD_1 src1_sel:DWORD
	v_mul_f16_e32 v41, 0xbb7b, v21
	v_mul_f16_e32 v42, 0xb94e, v24
	v_add_f16_e32 v15, v39, v15
	v_add_f16_e32 v12, v13, v12
	v_fma_f16 v13, v25, 0x3b15, -v45
	v_fmamk_f16 v34, v40, 0xb5ac, v41
	v_fma_f16 v38, v38, 0x2fb7, -v44
	v_pk_mul_f16 v47, 0x2fb7b5ac, v25
	v_fma_f16 v40, v40, 0xb5ac, -v41
	v_add_f16_e32 v13, v6, v13
	v_add_f16_e32 v12, v34, v12
	v_fmamk_f16 v34, v36, 0xb9fd, v42
	v_add_f16_e32 v15, v38, v15
	v_pk_fma_f16 v16, 0xbb7bbbf1, v4, v47 op_sel:[0,0,1] op_sel_hi:[1,1,0] neg_lo:[0,1,0] neg_hi:[0,1,0]
	v_add_f16_e32 v11, v11, v13
	v_fma_f16 v13, v27, 0x2fb7, -v46
	v_pk_mul_f16 v48, 0xbbc4b9fd, v29
	v_add_f16_e32 v12, v34, v12
	v_mul_f16_e32 v34, 0xb3a8, v26
	v_mul_f16_sdwa v43, v24, v71 dst_sel:DWORD dst_unused:UNUSED_PAD src0_sel:WORD_1 src1_sel:DWORD
	v_add_f16_e32 v11, v13, v11
	v_fma_f16 v13, v28, 0xb5ac, -v33
	v_fmac_f16_e32 v45, 0x3b15, v25
	v_add_f16_e32 v15, v40, v15
	v_pk_fma_f16 v40, 0xbb7bbbf1, v4, v47 op_sel:[0,0,1] op_sel_hi:[1,1,0]
	v_add_f16_e32 v69, v76, v69
	v_mul_f16_e32 v76, 0x3b15, v36
	v_pk_fma_f16 v37, 0x394eb3a8, v23, v48 op_sel:[0,0,1] op_sel_hi:[1,1,0] neg_lo:[0,1,0] neg_hi:[0,1,0]
	v_pk_mul_f16 v49, 0xb5ac3b15, v27
	v_add_f16_e32 v11, v13, v11
	v_fmamk_f16 v13, v35, 0xbbc4, v34
	v_fma_f16 v39, v30, 0xb9fd, -v43
	v_mul_f16_sdwa v32, v26, v32 dst_sel:DWORD dst_unused:UNUSED_PAD src0_sel:WORD_1 src1_sel:DWORD
	v_add_f16_sdwa v38, v6, v16 dst_sel:DWORD dst_unused:UNUSED_PAD src0_sel:WORD_1 src1_sel:DWORD
	v_add_f16_e32 v45, v6, v45
	v_fmac_f16_e32 v10, 0x388b, v29
	v_pk_add_f16 v51, v6, v40 op_sel:[1,0] op_sel_hi:[0,1]
	v_pk_fma_f16 v48, 0x394eb3a8, v23, v48 op_sel:[0,0,1] op_sel_hi:[1,1,0]
	v_fma_f16 v36, v36, 0xb9fd, -v42
	v_bfi_b32 v16, 0xffff, v40, v16
	v_pk_fma_f16 v44, 0x37703b7b, v22, v49 op_sel:[0,0,1] op_sel_hi:[1,1,0] neg_lo:[0,1,0] neg_hi:[0,1,0]
	v_add_f16_e32 v12, v13, v12
	v_pk_mul_f16 v13, 0x3b152fb7, v28
	v_add_f16_e32 v11, v39, v11
	v_fma_f16 v39, v31, 0xbbc4, -v32
	v_add_f16_e32 v10, v10, v45
	v_fmac_f16_e32 v46, 0x2fb7, v27
	v_pk_add_f16 v51, v48, v51
	v_pk_fma_f16 v49, 0x37703b7b, v22, v49 op_sel:[0,0,1] op_sel_hi:[1,1,0]
	v_add_f16_e32 v15, v36, v15
	v_pk_add_f16 v16, v6, v16 op_sel:[1,0] op_sel_hi:[0,1]
	v_bfi_b32 v36, 0xffff, v48, v37
	v_pk_add_f16 v7, v7, v8
	v_pk_mul_f16 v41, 0x388bbbc4, v30
	v_add_f16_e32 v11, v39, v11
	v_pk_fma_f16 v39, 0xbbf13770, v21, v13 op_sel:[0,0,1] op_sel_hi:[1,1,0] neg_lo:[0,1,0] neg_hi:[0,1,0]
	v_add_f16_e32 v10, v46, v10
	v_pk_add_f16 v46, v49, v51
	v_pk_fma_f16 v13, 0xbbf13770, v21, v13 op_sel:[0,0,1] op_sel_hi:[1,1,0]
	v_pk_add_f16 v8, v36, v16
	v_bfi_b32 v16, 0xffff, v49, v44
	v_pk_add_f16 v7, v7, v9
	v_pk_mul_f16 v9, 0xbbc4, v25 op_sel_hi:[0,1]
	v_pk_fma_f16 v47, 0x33a8ba95, v24, v41 op_sel:[0,0,1] op_sel_hi:[1,1,0] neg_lo:[0,1,0] neg_hi:[0,1,0]
	v_pk_add_f16 v46, v13, v46
	v_pk_fma_f16 v41, 0x33a8ba95, v24, v41 op_sel:[0,0,1] op_sel_hi:[1,1,0]
	v_pk_add_f16 v8, v16, v8
	v_bfi_b32 v13, 0xffff, v13, v39
	v_pk_add_f16 v7, v7, v20
	v_pk_fma_f16 v20, 0xb3a8, v4, v9 op_sel:[0,0,1] op_sel_hi:[0,1,0] neg_lo:[0,1,0] neg_hi:[0,1,0]
	v_pk_mul_f16 v25, 0x3b15, v29 op_sel_hi:[0,1]
	v_pk_mul_f16 v45, 0xb9fd388b, v31
	v_pk_add_f16 v8, v13, v8
	v_bfi_b32 v13, 0xffff, v41, v47
	v_pack_b32_f16 v11, v11, v12
	v_pk_add_f16 v12, v6, v20 op_sel:[1,0] op_sel_hi:[0,1]
	v_pk_fma_f16 v20, 0x3770, v23, v25 op_sel:[0,0,1] op_sel_hi:[0,1,0] neg_lo:[0,1,0] neg_hi:[0,1,0]
	v_pk_mul_f16 v27, 0xb9fd, v27 op_sel_hi:[0,1]
	v_pk_fma_f16 v4, 0xb3a8, v4, v9 op_sel:[0,0,1] op_sel_hi:[0,1,0]
	v_pk_fma_f16 v42, 0x3a95b94e, v26, v45 op_sel:[0,0,1] op_sel_hi:[1,1,0] neg_lo:[0,1,0] neg_hi:[0,1,0]
	v_pk_add_f16 v8, v13, v8
	v_pk_fma_f16 v9, 0x3a95b94e, v26, v45 op_sel:[0,0,1] op_sel_hi:[1,1,0]
	v_pk_add_f16 v12, v20, v12
	v_pk_fma_f16 v13, 0xb94e, v22, v27 op_sel:[0,0,1] op_sel_hi:[0,1,0] neg_lo:[0,1,0] neg_hi:[0,1,0]
	v_pk_mul_f16 v20, 0x388b, v28 op_sel_hi:[0,1]
	v_pk_add_f16 v4, v6, v4 op_sel:[1,0] op_sel_hi:[0,1]
	v_pk_fma_f16 v6, 0x3770, v23, v25 op_sel:[0,0,1] op_sel_hi:[0,1,0]
	v_fmac_f16_e32 v33, 0xb5ac, v28
	v_bfi_b32 v9, 0xffff, v9, v42
	v_pk_add_f16 v12, v13, v12
	v_pk_fma_f16 v13, 0x3a95, v21, v20 op_sel:[0,0,1] op_sel_hi:[0,1,0] neg_lo:[0,1,0] neg_hi:[0,1,0]
	v_pk_mul_f16 v23, 0xb5ac, v30 op_sel_hi:[0,1]
	v_fmac_f16_e32 v62, 0xbbf1, v21
	v_fma_f16 v58, v31, 0xb5ac, -v82
	v_pk_add_f16 v4, v6, v4
	v_pk_fma_f16 v6, 0xb94e, v22, v27 op_sel:[0,0,1] op_sel_hi:[0,1,0]
	v_add_f16_e32 v72, v77, v72
	v_fmamk_f16 v74, v31, 0xb5ac, v82
	v_add_f16_e32 v10, v33, v10
	v_mul_f16_e32 v33, 0xbb7b, v26
	v_pk_add_f16 v8, v9, v8
	v_pk_add_f16 v9, v13, v12
	v_pk_fma_f16 v12, 0xbb7b, v24, v23 op_sel:[0,0,1] op_sel_hi:[0,1,0] neg_lo:[0,1,0] neg_hi:[0,1,0]
	v_add_f16_e32 v38, v37, v38
	v_fmac_f16_e32 v80, 0x33a8, v21
	v_add_f16_e32 v56, v62, v56
	v_fmac_f16_e32 v68, 0x33a8, v24
	v_add_f16_e32 v53, v58, v53
	v_fma_f16 v58, v30, 0x388b, -v66
	v_mad_u32_u24 v16, v0, 48, v18
	v_pk_add_f16 v4, v6, v4
	v_pk_fma_f16 v6, 0x3a95, v21, v20 op_sel:[0,0,1] op_sel_hi:[0,1,0]
	v_add_f16_e32 v72, v74, v72
	v_fmamk_f16 v74, v24, 0xb770, v76
	v_mul_f16_e32 v77, 0xb5ac, v35
	v_pk_mul_f16 v40, 0x3a95b94e, v26
	v_pk_add_f16 v9, v12, v9
	v_bfi_b32 v12, 0xffff, v33, v46
	v_add_f16_e32 v38, v44, v38
	v_add_f16_e32 v69, v80, v69
	v_fmac_f16_e32 v76, 0x3770, v24
	v_add_f16_e32 v56, v68, v56
	v_fmac_f16_e32 v67, 0x3a95, v26
	v_add_f16_e32 v52, v58, v52
	v_fma_f16 v50, v31, 0xb9fd, -v75
	ds_write2_b32 v16, v7, v11 offset1:1
	v_pk_mul_f16 v11, 0x2fb7, v31 op_sel_hi:[0,1]
	v_pk_add_f16 v4, v6, v4
	v_pk_fma_f16 v6, 0xbb7b, v24, v23 op_sel:[0,0,1] op_sel_hi:[0,1,0]
	v_pack_b32_f16 v13, v74, v45
	v_bfi_b32 v20, 0xffff, v70, v40
	v_pk_add_f16 v12, v77, v12 neg_lo:[0,1] neg_hi:[0,1]
	v_pk_add_f16 v21, v41, v46
	v_add_f16_e32 v38, v39, v38
	v_fmac_f16_e32 v43, 0xb9fd, v30
	v_add_f16_e32 v69, v76, v69
	v_fmamk_f16 v76, v26, 0xbb7b, v77
	v_add_f16_e32 v56, v67, v56
	v_add_f16_e32 v50, v50, v52
	v_pk_fma_f16 v22, 0x3bf1, v26, v11 op_sel:[0,0,1] op_sel_hi:[0,1,0] neg_lo:[0,1,0] neg_hi:[0,1,0]
	v_pk_add_f16 v4, v6, v4
	v_pk_fma_f16 v6, 0x3bf1, v26, v11 op_sel:[0,0,1] op_sel_hi:[0,1,0]
	v_pk_add_f16 v11, v13, v20
	v_bfi_b32 v12, 0xffff, v12, v21
	v_add_f16_e32 v38, v47, v38
	v_fma_f16 v34, v35, 0xbbc4, -v34
	v_add_f16_e32 v10, v43, v10
	v_fmac_f16_e32 v32, 0xbbc4, v31
	v_add_f16_e32 v60, v76, v69
	v_alignbit_b32 v7, v56, v8, 16
	v_pack_b32_f16 v8, v50, v8
	v_pk_add_f16 v9, v22, v9
	v_pk_add_f16 v4, v6, v4
	v_pk_add_f16 v11, v12, v11
	v_add_f16_e32 v38, v42, v38
	v_add_f16_e32 v15, v34, v15
	;; [unrolled: 1-line block ×3, first 2 shown]
	v_pack_b32_f16 v6, v17, v14
	ds_write2_b32 v16, v8, v7 offset0:3 offset1:4
	v_pack_b32_f16 v7, v53, v60
	v_alignbit_b32 v8, v9, v4, 16
	v_alignbit_b32 v4, v4, v9, 16
	;; [unrolled: 1-line block ×3, first 2 shown]
	v_pack_b32_f16 v11, v72, v11
	v_pack_b32_f16 v12, v65, v38
	v_perm_b32 v13, v1, v5, 0x5040100
	v_pack_b32_f16 v10, v10, v15
	ds_write2_b32 v16, v6, v7 offset0:2 offset1:5
	ds_write2_b32 v16, v4, v8 offset0:6 offset1:7
	;; [unrolled: 1-line block ×4, first 2 shown]
	ds_write_b32 v16, v10 offset:48
.LBB0_21:
	s_or_b32 exec_lo, exec_lo, s1
	v_and_b32_e32 v4, 0xff, v0
	v_mov_b32_e32 v7, 10
	s_waitcnt lgkmcnt(0)
	s_barrier
	buffer_gl0_inv
	v_mul_lo_u16 v4, 0x4f, v4
	v_add_nc_u32_e32 v9, 0x200, v18
	v_mov_b32_e32 v10, 2
	v_cmp_gt_u32_e64 s0, 39, v0
	v_lshrrev_b16 v4, 10, v4
	v_mul_lo_u16 v6, v4, 13
	v_sub_nc_u16 v8, v0, v6
	v_mul_u32_u24_sdwa v6, v8, v7 dst_sel:DWORD dst_unused:UNUSED_PAD src0_sel:BYTE_0 src1_sel:DWORD
	v_lshlrev_b32_sdwa v8, v10, v8 dst_sel:DWORD dst_unused:UNUSED_PAD src0_sel:DWORD src1_sel:BYTE_0
	v_lshlrev_b32_e32 v6, 2, v6
	s_clause 0x2
	global_load_dwordx4 v[21:24], v6, s[8:9]
	global_load_dwordx4 v[25:28], v6, s[8:9] offset:16
	global_load_dwordx2 v[29:30], v6, s[8:9] offset:32
	ds_read2_b32 v[11:12], v19 offset0:56 offset1:108
	ds_read2_b32 v[31:32], v19 offset0:160 offset1:212
	ds_read_b32 v37, v18 offset:2080
	ds_read2_b32 v[6:7], v18 offset1:52
	ds_read2_b32 v[33:34], v18 offset0:104 offset1:156
	ds_read2_b32 v[35:36], v9 offset0:80 offset1:132
	v_mov_b32_e32 v9, 0x23c
	s_waitcnt vmcnt(0) lgkmcnt(0)
	s_barrier
	buffer_gl0_inv
	v_mul_u32_u24_sdwa v4, v4, v9 dst_sel:DWORD dst_unused:UNUSED_PAD src0_sel:WORD_0 src1_sel:DWORD
	v_add3_u32 v8, 0, v4, v8
	v_lshrrev_b32_e32 v41, 16, v37
	v_lshrrev_b32_e32 v17, 16, v7
	;; [unrolled: 1-line block ×10, first 2 shown]
	v_mul_f16_sdwa v46, v21, v17 dst_sel:DWORD dst_unused:UNUSED_PAD src0_sel:WORD_1 src1_sel:DWORD
	v_mul_f16_sdwa v47, v21, v7 dst_sel:DWORD dst_unused:UNUSED_PAD src0_sel:WORD_1 src1_sel:DWORD
	;; [unrolled: 1-line block ×10, first 2 shown]
	v_fma_f16 v46, v21, v7, -v46
	v_fmac_f16_e32 v47, v21, v17
	v_mul_f16_sdwa v54, v15, v26 dst_sel:DWORD dst_unused:UNUSED_PAD src0_sel:DWORD src1_sel:WORD_1
	v_mul_f16_sdwa v58, v41, v30 dst_sel:DWORD dst_unused:UNUSED_PAD src0_sel:DWORD src1_sel:WORD_1
	;; [unrolled: 1-line block ×4, first 2 shown]
	v_fma_f16 v33, v22, v33, -v48
	v_fmac_f16_e32 v49, v22, v42
	v_fma_f16 v22, v23, v34, -v50
	v_fmac_f16_e32 v51, v23, v43
	;; [unrolled: 2-line block ×4, first 2 shown]
	v_add_f16_e32 v24, v46, v6
	v_add_f16_sdwa v25, v47, v6 dst_sel:DWORD dst_unused:UNUSED_PAD src0_sel:DWORD src1_sel:WORD_1
	v_mul_f16_sdwa v14, v11, v26 dst_sel:DWORD dst_unused:UNUSED_PAD src0_sel:DWORD src1_sel:WORD_1
	v_mul_f16_sdwa v55, v38, v27 dst_sel:DWORD dst_unused:UNUSED_PAD src0_sel:DWORD src1_sel:WORD_1
	;; [unrolled: 1-line block ×6, first 2 shown]
	v_fma_f16 v17, v11, v26, -v54
	v_fma_f16 v11, v37, v30, -v58
	v_fmac_f16_e32 v9, v41, v30
	v_fma_f16 v7, v31, v28, -v56
	v_add_f16_e32 v24, v24, v33
	v_add_f16_e32 v25, v25, v49
	v_fmac_f16_e32 v14, v15, v26
	v_fma_f16 v15, v12, v27, -v55
	v_fmac_f16_e32 v13, v38, v27
	v_fmac_f16_e32 v4, v39, v28
	v_fma_f16 v12, v32, v29, -v57
	v_fmac_f16_e32 v10, v40, v29
	v_sub_f16_e32 v28, v46, v11
	v_sub_f16_e32 v29, v47, v9
	v_add_f16_e32 v35, v22, v7
	v_sub_f16_e32 v37, v22, v7
	v_add_f16_e32 v22, v24, v22
	v_add_f16_e32 v24, v25, v51
	;; [unrolled: 1-line block ×6, first 2 shown]
	v_sub_f16_e32 v32, v33, v12
	v_sub_f16_e32 v34, v49, v10
	;; [unrolled: 1-line block ×7, first 2 shown]
	v_mul_f16_e32 v33, 0xb853, v29
	v_mul_f16_e32 v47, 0xb853, v28
	;; [unrolled: 1-line block ×10, first 2 shown]
	v_add_f16_e32 v42, v20, v13
	v_add_f16_e32 v22, v22, v23
	v_add_f16_e32 v20, v24, v20
	v_add_f16_e32 v36, v51, v4
	v_add_f16_e32 v39, v23, v15
	v_add_f16_e32 v44, v21, v17
	v_add_f16_e32 v46, v16, v14
	v_mul_f16_e32 v55, 0xbb47, v34
	v_mul_f16_e32 v56, 0xbb47, v32
	;; [unrolled: 1-line block ×40, first 2 shown]
	v_fma_f16 v25, v26, 0x3abb, -v33
	v_fmamk_f16 v51, v27, 0x3abb, v47
	v_fmac_f16_e32 v33, 0x3abb, v26
	v_fma_f16 v47, v27, 0x3abb, -v47
	v_fma_f16 v87, v26, 0x36a6, -v48
	v_fmamk_f16 v88, v27, 0x36a6, v49
	v_fmac_f16_e32 v48, 0x36a6, v26
	v_fma_f16 v49, v27, 0x36a6, -v49
	;; [unrolled: 4-line block ×5, first 2 shown]
	v_add_f16_e32 v21, v22, v21
	v_add_f16_e32 v16, v20, v16
	v_fma_f16 v27, v30, 0x36a6, -v55
	v_fmamk_f16 v28, v31, 0x36a6, v56
	v_fmac_f16_e32 v55, 0x36a6, v30
	v_fma_f16 v56, v31, 0x36a6, -v56
	v_fma_f16 v95, v30, 0xb93d, -v57
	v_fmamk_f16 v96, v31, 0xb93d, v58
	v_fmac_f16_e32 v57, 0xb93d, v30
	v_fma_f16 v58, v31, 0xb93d, -v58
	;; [unrolled: 4-line block ×9, first 2 shown]
	v_fma_f16 v109, v35, 0xb93d, -v38
	v_fmac_f16_e32 v38, 0xb93d, v35
	v_fmamk_f16 v35, v36, 0xb93d, v37
	v_fma_f16 v36, v36, 0xb93d, -v37
	v_fma_f16 v37, v39, 0xb93d, -v71
	v_fmac_f16_e32 v71, 0xb93d, v39
	v_fma_f16 v110, v39, 0xb08e, -v72
	v_fmac_f16_e32 v72, 0xb08e, v39
	;; [unrolled: 2-line block ×5, first 2 shown]
	v_fmamk_f16 v39, v42, 0xb93d, v75
	v_fma_f16 v75, v42, 0xb93d, -v75
	v_fmamk_f16 v114, v42, 0xb08e, v76
	v_fma_f16 v76, v42, 0xb08e, -v76
	;; [unrolled: 2-line block ×5, first 2 shown]
	v_fma_f16 v42, v44, 0xbbad, -v79
	v_fmac_f16_e32 v79, 0xbbad, v44
	v_fma_f16 v118, v44, 0x3abb, -v80
	v_fmac_f16_e32 v80, 0x3abb, v44
	;; [unrolled: 2-line block ×5, first 2 shown]
	v_fmamk_f16 v44, v46, 0xbbad, v83
	v_fma_f16 v83, v46, 0xbbad, -v83
	v_fmamk_f16 v122, v46, 0x3abb, v84
	v_fma_f16 v84, v46, 0x3abb, -v84
	;; [unrolled: 2-line block ×5, first 2 shown]
	v_add_f16_e32 v23, v25, v6
	v_add_f16_sdwa v25, v51, v6 dst_sel:DWORD dst_unused:UNUSED_PAD src0_sel:DWORD src1_sel:WORD_1
	v_add_f16_e32 v33, v33, v6
	v_add_f16_sdwa v46, v47, v6 dst_sel:DWORD dst_unused:UNUSED_PAD src0_sel:DWORD src1_sel:WORD_1
	;; [unrolled: 2-line block ×10, first 2 shown]
	v_add_f16_e32 v17, v21, v17
	v_add_f16_e32 v14, v16, v14
	v_add_f16_e32 v20, v27, v23
	v_add_f16_e32 v22, v28, v25
	v_add_f16_e32 v23, v55, v33
	v_add_f16_e32 v25, v56, v46
	v_add_f16_e32 v26, v95, v47
	v_add_f16_e32 v27, v96, v51
	v_add_f16_e32 v28, v57, v48
	v_add_f16_e32 v33, v58, v49
	v_add_f16_e32 v46, v97, v87
	v_add_f16_e32 v47, v98, v88
	v_add_f16_e32 v48, v59, v50
	v_add_f16_e32 v49, v60, v52
	v_add_f16_e32 v50, v99, v89
	v_add_f16_e32 v51, v100, v90
	v_add_f16_e32 v52, v61, v53
	v_add_f16_e32 v53, v62, v54
	v_add_f16_e32 v54, v101, v91
	v_add_f16_e32 v24, v102, v24
	v_add_f16_e32 v29, v34, v29
	v_add_f16_e32 v6, v30, v6
	v_add_f16_e32 v15, v17, v15
	v_add_f16_e32 v13, v14, v13
	v_add_f16_e32 v16, v31, v20
	v_add_f16_e32 v20, v32, v22
	v_add_f16_e32 v21, v63, v23
	v_add_f16_e32 v22, v64, v25
	v_add_f16_e32 v23, v103, v26
	v_add_f16_e32 v25, v104, v27
	v_add_f16_e32 v26, v65, v28
	v_add_f16_e32 v27, v66, v33
	v_add_f16_e32 v28, v105, v46
	v_add_f16_e32 v30, v106, v47
	v_add_f16_e32 v31, v67, v48
	v_add_f16_e32 v32, v68, v49
	v_add_f16_e32 v33, v107, v50
	v_add_f16_e32 v34, v108, v51
	v_add_f16_e32 v48, v109, v54
	v_add_f16_e32 v24, v35, v24
	v_add_f16_e32 v46, v69, v52
	v_add_f16_e32 v47, v70, v53
	v_add_f16_e32 v29, v38, v29
	v_add_f16_e32 v6, v36, v6
	v_add_f16_e32 v15, v15, v7
	v_add_f16_e32 v13, v13, v4
	v_add_f16_e32 v14, v37, v16
	v_add_f16_e32 v16, v39, v20
	v_add_f16_e32 v17, v71, v21
	v_add_f16_e32 v20, v75, v22
	v_add_f16_e32 v21, v110, v23
	v_add_f16_e32 v22, v114, v25
	v_add_f16_e32 v23, v72, v26
	v_add_f16_e32 v25, v76, v27
	v_add_f16_e32 v26, v111, v28
	v_add_f16_e32 v27, v115, v30
	v_add_f16_e32 v28, v73, v31
	v_add_f16_e32 v30, v77, v32
	v_add_f16_e32 v31, v112, v33
	v_add_f16_e32 v32, v116, v34
	v_add_f16_e32 v35, v113, v48
	v_add_f16_e32 v24, v117, v24
	v_add_f16_e32 v33, v74, v46
	v_add_f16_e32 v34, v78, v47
	v_add_f16_e32 v29, v40, v29
	v_add_f16_e32 v36, v41, v6
	v_add_f16_e32 v12, v15, v12
	v_add_f16_e32 v10, v13, v10
	v_add_f16_e32 v14, v42, v14
	v_add_f16_e32 v37, v44, v16
	v_add_f16_e32 v4, v79, v17
	v_add_f16_e32 v17, v83, v20
	v_add_f16_e32 v21, v118, v21
	v_add_f16_e32 v22, v122, v22
	v_add_f16_e32 v7, v80, v23
	v_add_f16_e32 v20, v84, v25
	v_add_f16_e32 v23, v119, v26
	v_add_f16_e32 v25, v123, v27
	v_add_f16_e32 v26, v120, v31
	v_add_f16_e32 v27, v124, v32
	v_add_f16_e32 v31, v121, v35
	v_add_f16_e32 v24, v125, v24
	v_add_f16_e32 v6, v81, v28
	v_add_f16_e32 v16, v85, v30
	v_add_f16_e32 v28, v82, v33
	v_add_f16_e32 v30, v86, v34
	v_add_f16_e32 v29, v43, v29
	v_add_f16_e32 v32, v45, v36
	v_add_f16_e32 v11, v12, v11
	v_add_f16_e32 v9, v10, v9
	v_pack_b32_f16 v13, v14, v37
	v_pack_b32_f16 v14, v21, v22
	v_pack_b32_f16 v15, v23, v25
	v_pack_b32_f16 v21, v26, v27
	v_pack_b32_f16 v22, v31, v24
	v_pack_b32_f16 v23, v29, v32
	v_pack_b32_f16 v24, v28, v30
	v_pack_b32_f16 v10, v6, v16
	v_pack_b32_f16 v12, v7, v20
	v_pack_b32_f16 v25, v4, v17
	v_pack_b32_f16 v9, v11, v9
	ds_write2_b32 v8, v14, v15 offset0:26 offset1:39
	ds_write2_b32 v8, v21, v22 offset0:52 offset1:65
	;; [unrolled: 1-line block ×4, first 2 shown]
	ds_write_b32 v8, v25 offset:520
	ds_write2_b32 v8, v9, v13 offset1:13
	s_waitcnt lgkmcnt(0)
	s_barrier
	buffer_gl0_inv
	ds_read2_b32 v[8:9], v18 offset1:52
	ds_read2_b32 v[10:11], v18 offset0:143 offset1:195
	ds_read2_b32 v[12:13], v19 offset0:30 offset1:82
	;; [unrolled: 1-line block ×3, first 2 shown]
	s_and_saveexec_b32 s1, s0
	s_cbranch_execz .LBB0_23
; %bb.22:
	v_add_nc_u32_e32 v1, 0x600, v18
	ds_read2_b32 v[6:7], v18 offset0:104 offset1:247
	ds_read2_b32 v[4:5], v1 offset0:6 offset1:149
	s_waitcnt lgkmcnt(1)
	v_lshrrev_b32_e32 v16, 16, v6
	s_waitcnt lgkmcnt(0)
	v_lshrrev_b32_e32 v17, 16, v4
	v_lshrrev_b32_e32 v1, 16, v5
	;; [unrolled: 1-line block ×3, first 2 shown]
.LBB0_23:
	s_or_b32 exec_lo, exec_lo, s1
	v_mul_u32_u24_e32 v19, 3, v0
	s_waitcnt lgkmcnt(0)
	v_lshrrev_b32_e32 v28, 16, v15
	v_lshrrev_b32_e32 v29, 16, v13
	;; [unrolled: 1-line block ×4, first 2 shown]
	v_lshlrev_b32_e32 v19, 2, v19
	v_lshrrev_b32_e32 v32, 16, v10
	v_lshrrev_b32_e32 v33, 16, v12
	;; [unrolled: 1-line block ×3, first 2 shown]
	v_add_nc_u32_e32 v34, 0x400, v18
	s_clause 0x1
	global_load_dwordx3 v[21:23], v19, s[8:9] offset:520
	global_load_dwordx3 v[24:26], v19, s[8:9] offset:1144
	v_lshrrev_b32_e32 v19, 16, v8
	s_waitcnt vmcnt(0)
	s_barrier
	buffer_gl0_inv
	v_mul_f16_sdwa v35, v21, v32 dst_sel:DWORD dst_unused:UNUSED_PAD src0_sel:WORD_1 src1_sel:DWORD
	v_mul_f16_sdwa v36, v21, v10 dst_sel:DWORD dst_unused:UNUSED_PAD src0_sel:WORD_1 src1_sel:DWORD
	;; [unrolled: 1-line block ×12, first 2 shown]
	v_fma_f16 v10, v21, v10, -v35
	v_fmac_f16_e32 v36, v21, v32
	v_fma_f16 v12, v22, v12, -v37
	v_fmac_f16_e32 v38, v22, v33
	;; [unrolled: 2-line block ×6, first 2 shown]
	v_sub_f16_e32 v12, v8, v12
	v_sub_f16_e32 v21, v19, v38
	;; [unrolled: 1-line block ×8, first 2 shown]
	v_fma_f16 v8, v8, 2.0, -v12
	v_fma_f16 v19, v19, 2.0, -v21
	;; [unrolled: 1-line block ×8, first 2 shown]
	v_sub_f16_e32 v22, v12, v22
	v_add_f16_e32 v14, v21, v14
	v_sub_f16_e32 v24, v13, v24
	v_add_f16_e32 v15, v23, v15
	v_sub_f16_e32 v10, v8, v10
	v_sub_f16_e32 v25, v19, v25
	;; [unrolled: 1-line block ×4, first 2 shown]
	v_fma_f16 v12, v12, 2.0, -v22
	v_fma_f16 v21, v21, 2.0, -v14
	;; [unrolled: 1-line block ×4, first 2 shown]
	v_pack_b32_f16 v14, v22, v14
	v_fma_f16 v8, v8, 2.0, -v10
	v_fma_f16 v19, v19, 2.0, -v25
	;; [unrolled: 1-line block ×4, first 2 shown]
	v_pack_b32_f16 v12, v12, v21
	v_pack_b32_f16 v13, v13, v23
	;; [unrolled: 1-line block ×7, first 2 shown]
	ds_write2_b32 v18, v12, v13 offset0:143 offset1:195
	ds_write2_b32 v34, v10, v11 offset0:30 offset1:82
	ds_write2_b32 v18, v8, v9 offset1:52
	ds_write2_b32 v34, v14, v15 offset0:173 offset1:225
	s_and_saveexec_b32 s1, s0
	s_cbranch_execz .LBB0_25
; %bb.24:
	v_add_nc_u32_e32 v8, 0x68, v0
	v_subrev_nc_u32_e32 v9, 39, v0
	v_cndmask_b32_e64 v8, v9, v8, s0
	v_mov_b32_e32 v9, 0
	v_mul_i32_i24_e32 v8, 3, v8
	v_lshlrev_b64 v[8:9], 2, v[8:9]
	v_add_co_u32 v8, s0, s8, v8
	v_add_co_ci_u32_e64 v9, s0, s9, v9, s0
	global_load_dwordx3 v[8:10], v[8:9], off offset:520
	s_waitcnt vmcnt(0)
	v_mul_f16_sdwa v11, v17, v9 dst_sel:DWORD dst_unused:UNUSED_PAD src0_sel:DWORD src1_sel:WORD_1
	v_mul_f16_sdwa v12, v7, v8 dst_sel:DWORD dst_unused:UNUSED_PAD src0_sel:DWORD src1_sel:WORD_1
	;; [unrolled: 1-line block ×6, first 2 shown]
	v_fma_f16 v4, v4, v9, -v11
	v_fmac_f16_e32 v12, v20, v8
	v_fma_f16 v7, v7, v8, -v14
	v_fma_f16 v5, v5, v10, -v15
	v_fmac_f16_e32 v19, v17, v9
	v_fmac_f16_e32 v13, v1, v10
	v_sub_f16_e32 v1, v6, v4
	v_add_nc_u32_e32 v11, 0x600, v18
	v_sub_f16_e32 v4, v7, v5
	v_sub_f16_e32 v5, v16, v19
	;; [unrolled: 1-line block ×3, first 2 shown]
	v_fma_f16 v6, v6, 2.0, -v1
	v_fma_f16 v7, v7, 2.0, -v4
	;; [unrolled: 1-line block ×4, first 2 shown]
	v_sub_f16_e32 v8, v1, v8
	v_add_f16_e32 v4, v5, v4
	v_sub_f16_e32 v7, v6, v7
	v_sub_f16_e32 v10, v9, v10
	v_fma_f16 v1, v1, 2.0, -v8
	v_fma_f16 v5, v5, 2.0, -v4
	;; [unrolled: 1-line block ×3, first 2 shown]
	v_pack_b32_f16 v4, v8, v4
	v_fma_f16 v9, v9, 2.0, -v10
	v_pack_b32_f16 v1, v1, v5
	v_pack_b32_f16 v5, v6, v9
	;; [unrolled: 1-line block ×3, first 2 shown]
	ds_write2_b32 v18, v5, v1 offset0:104 offset1:247
	ds_write2_b32 v11, v6, v4 offset0:6 offset1:149
.LBB0_25:
	s_or_b32 exec_lo, exec_lo, s1
	s_waitcnt lgkmcnt(0)
	s_barrier
	buffer_gl0_inv
	s_and_saveexec_b32 s0, vcc_lo
	s_cbranch_execz .LBB0_27
; %bb.26:
	v_lshl_add_u32 v14, v0, 2, 0
	v_mov_b32_e32 v1, 0
	v_add_co_u32 v15, vcc_lo, s2, v2
	v_add_nc_u32_e32 v4, 52, v0
	ds_read2_b32 v[6:7], v14 offset1:52
	v_mov_b32_e32 v5, v1
	v_add_co_ci_u32_e32 v16, vcc_lo, s3, v3, vcc_lo
	ds_read2_b32 v[2:3], v14 offset0:104 offset1:156
	v_lshlrev_b64 v[10:11], 2, v[0:1]
	v_add_nc_u32_e32 v8, 0x68, v0
	v_mov_b32_e32 v9, v1
	v_lshlrev_b64 v[4:5], 2, v[4:5]
	v_add_nc_u32_e32 v12, 0xd0, v0
	v_mov_b32_e32 v13, v1
	v_add_co_u32 v10, vcc_lo, v15, v10
	v_lshlrev_b64 v[8:9], 2, v[8:9]
	v_add_co_ci_u32_e32 v11, vcc_lo, v16, v11, vcc_lo
	v_add_co_u32 v4, vcc_lo, v15, v4
	v_add_co_ci_u32_e32 v5, vcc_lo, v16, v5, vcc_lo
	v_add_co_u32 v8, vcc_lo, v15, v8
	s_waitcnt lgkmcnt(1)
	global_store_dword v[10:11], v6, off
	v_add_co_ci_u32_e32 v9, vcc_lo, v16, v9, vcc_lo
	v_add_nc_u32_e32 v6, 0x200, v14
	v_add_nc_u32_e32 v10, 0x9c, v0
	v_mov_b32_e32 v11, v1
	global_store_dword v[4:5], v7, off
	s_waitcnt lgkmcnt(0)
	global_store_dword v[8:9], v2, off
	v_lshlrev_b64 v[8:9], 2, v[12:13]
	ds_read2_b32 v[6:7], v6 offset0:80 offset1:132
	v_add_nc_u32_e32 v12, 0x138, v0
	v_lshlrev_b64 v[4:5], 2, v[10:11]
	v_add_nc_u32_e32 v10, 0x104, v0
	v_add_nc_u32_e32 v17, 0x400, v14
	v_add_co_u32 v4, vcc_lo, v15, v4
	v_lshlrev_b64 v[10:11], 2, v[10:11]
	v_add_co_ci_u32_e32 v5, vcc_lo, v16, v5, vcc_lo
	v_add_co_u32 v8, vcc_lo, v15, v8
	v_add_co_ci_u32_e32 v9, vcc_lo, v16, v9, vcc_lo
	v_add_co_u32 v10, vcc_lo, v15, v10
	v_add_co_ci_u32_e32 v11, vcc_lo, v16, v11, vcc_lo
	global_store_dword v[4:5], v3, off
	s_waitcnt lgkmcnt(0)
	global_store_dword v[8:9], v6, off
	global_store_dword v[10:11], v7, off
	v_add_nc_u32_e32 v6, 0x16c, v0
	v_mov_b32_e32 v7, v1
	v_lshlrev_b64 v[4:5], 2, v[12:13]
	ds_read2_b32 v[2:3], v17 offset0:56 offset1:108
	v_add_nc_u32_e32 v8, 0x1a0, v0
	v_mov_b32_e32 v9, v1
	v_lshlrev_b64 v[6:7], 2, v[6:7]
	ds_read2_b32 v[10:11], v17 offset0:160 offset1:212
	v_add_nc_u32_e32 v12, 0x1d4, v0
	ds_read_b32 v14, v14 offset:2080
	v_add_co_u32 v4, vcc_lo, v15, v4
	v_lshlrev_b64 v[8:9], 2, v[8:9]
	v_add_nc_u32_e32 v0, 0x208, v0
	v_add_co_ci_u32_e32 v5, vcc_lo, v16, v5, vcc_lo
	v_add_co_u32 v6, vcc_lo, v15, v6
	v_lshlrev_b64 v[12:13], 2, v[12:13]
	v_add_co_ci_u32_e32 v7, vcc_lo, v16, v7, vcc_lo
	v_add_co_u32 v8, vcc_lo, v15, v8
	v_lshlrev_b64 v[0:1], 2, v[0:1]
	v_add_co_ci_u32_e32 v9, vcc_lo, v16, v9, vcc_lo
	v_add_co_u32 v12, vcc_lo, v15, v12
	v_add_co_ci_u32_e32 v13, vcc_lo, v16, v13, vcc_lo
	v_add_co_u32 v0, vcc_lo, v15, v0
	v_add_co_ci_u32_e32 v1, vcc_lo, v16, v1, vcc_lo
	s_waitcnt lgkmcnt(2)
	global_store_dword v[4:5], v2, off
	global_store_dword v[6:7], v3, off
	s_waitcnt lgkmcnt(1)
	global_store_dword v[8:9], v10, off
	global_store_dword v[12:13], v11, off
	s_waitcnt lgkmcnt(0)
	global_store_dword v[0:1], v14, off
.LBB0_27:
	s_endpgm
	.section	.rodata,"a",@progbits
	.p2align	6, 0x0
	.amdhsa_kernel fft_rtc_fwd_len572_factors_13_11_4_wgs_52_tpt_52_half_ip_CI_unitstride_sbrr_C2R_dirReg
		.amdhsa_group_segment_fixed_size 0
		.amdhsa_private_segment_fixed_size 0
		.amdhsa_kernarg_size 88
		.amdhsa_user_sgpr_count 6
		.amdhsa_user_sgpr_private_segment_buffer 1
		.amdhsa_user_sgpr_dispatch_ptr 0
		.amdhsa_user_sgpr_queue_ptr 0
		.amdhsa_user_sgpr_kernarg_segment_ptr 1
		.amdhsa_user_sgpr_dispatch_id 0
		.amdhsa_user_sgpr_flat_scratch_init 0
		.amdhsa_user_sgpr_private_segment_size 0
		.amdhsa_wavefront_size32 1
		.amdhsa_uses_dynamic_stack 0
		.amdhsa_system_sgpr_private_segment_wavefront_offset 0
		.amdhsa_system_sgpr_workgroup_id_x 1
		.amdhsa_system_sgpr_workgroup_id_y 0
		.amdhsa_system_sgpr_workgroup_id_z 0
		.amdhsa_system_sgpr_workgroup_info 0
		.amdhsa_system_vgpr_workitem_id 0
		.amdhsa_next_free_vgpr 126
		.amdhsa_next_free_sgpr 21
		.amdhsa_reserve_vcc 1
		.amdhsa_reserve_flat_scratch 0
		.amdhsa_float_round_mode_32 0
		.amdhsa_float_round_mode_16_64 0
		.amdhsa_float_denorm_mode_32 3
		.amdhsa_float_denorm_mode_16_64 3
		.amdhsa_dx10_clamp 1
		.amdhsa_ieee_mode 1
		.amdhsa_fp16_overflow 0
		.amdhsa_workgroup_processor_mode 1
		.amdhsa_memory_ordered 1
		.amdhsa_forward_progress 0
		.amdhsa_shared_vgpr_count 0
		.amdhsa_exception_fp_ieee_invalid_op 0
		.amdhsa_exception_fp_denorm_src 0
		.amdhsa_exception_fp_ieee_div_zero 0
		.amdhsa_exception_fp_ieee_overflow 0
		.amdhsa_exception_fp_ieee_underflow 0
		.amdhsa_exception_fp_ieee_inexact 0
		.amdhsa_exception_int_div_zero 0
	.end_amdhsa_kernel
	.text
.Lfunc_end0:
	.size	fft_rtc_fwd_len572_factors_13_11_4_wgs_52_tpt_52_half_ip_CI_unitstride_sbrr_C2R_dirReg, .Lfunc_end0-fft_rtc_fwd_len572_factors_13_11_4_wgs_52_tpt_52_half_ip_CI_unitstride_sbrr_C2R_dirReg
                                        ; -- End function
	.section	.AMDGPU.csdata,"",@progbits
; Kernel info:
; codeLenInByte = 9852
; NumSgprs: 23
; NumVgprs: 126
; ScratchSize: 0
; MemoryBound: 0
; FloatMode: 240
; IeeeMode: 1
; LDSByteSize: 0 bytes/workgroup (compile time only)
; SGPRBlocks: 2
; VGPRBlocks: 15
; NumSGPRsForWavesPerEU: 23
; NumVGPRsForWavesPerEU: 126
; Occupancy: 8
; WaveLimiterHint : 1
; COMPUTE_PGM_RSRC2:SCRATCH_EN: 0
; COMPUTE_PGM_RSRC2:USER_SGPR: 6
; COMPUTE_PGM_RSRC2:TRAP_HANDLER: 0
; COMPUTE_PGM_RSRC2:TGID_X_EN: 1
; COMPUTE_PGM_RSRC2:TGID_Y_EN: 0
; COMPUTE_PGM_RSRC2:TGID_Z_EN: 0
; COMPUTE_PGM_RSRC2:TIDIG_COMP_CNT: 0
	.text
	.p2alignl 6, 3214868480
	.fill 48, 4, 3214868480
	.type	__hip_cuid_35271891630d7129,@object ; @__hip_cuid_35271891630d7129
	.section	.bss,"aw",@nobits
	.globl	__hip_cuid_35271891630d7129
__hip_cuid_35271891630d7129:
	.byte	0                               ; 0x0
	.size	__hip_cuid_35271891630d7129, 1

	.ident	"AMD clang version 19.0.0git (https://github.com/RadeonOpenCompute/llvm-project roc-6.4.0 25133 c7fe45cf4b819c5991fe208aaa96edf142730f1d)"
	.section	".note.GNU-stack","",@progbits
	.addrsig
	.addrsig_sym __hip_cuid_35271891630d7129
	.amdgpu_metadata
---
amdhsa.kernels:
  - .args:
      - .actual_access:  read_only
        .address_space:  global
        .offset:         0
        .size:           8
        .value_kind:     global_buffer
      - .offset:         8
        .size:           8
        .value_kind:     by_value
      - .actual_access:  read_only
        .address_space:  global
        .offset:         16
        .size:           8
        .value_kind:     global_buffer
      - .actual_access:  read_only
        .address_space:  global
        .offset:         24
        .size:           8
        .value_kind:     global_buffer
      - .offset:         32
        .size:           8
        .value_kind:     by_value
      - .actual_access:  read_only
        .address_space:  global
        .offset:         40
        .size:           8
        .value_kind:     global_buffer
      - .actual_access:  read_only
        .address_space:  global
        .offset:         48
        .size:           8
        .value_kind:     global_buffer
      - .offset:         56
        .size:           4
        .value_kind:     by_value
      - .actual_access:  read_only
        .address_space:  global
        .offset:         64
        .size:           8
        .value_kind:     global_buffer
      - .actual_access:  read_only
        .address_space:  global
        .offset:         72
        .size:           8
        .value_kind:     global_buffer
      - .address_space:  global
        .offset:         80
        .size:           8
        .value_kind:     global_buffer
    .group_segment_fixed_size: 0
    .kernarg_segment_align: 8
    .kernarg_segment_size: 88
    .language:       OpenCL C
    .language_version:
      - 2
      - 0
    .max_flat_workgroup_size: 52
    .name:           fft_rtc_fwd_len572_factors_13_11_4_wgs_52_tpt_52_half_ip_CI_unitstride_sbrr_C2R_dirReg
    .private_segment_fixed_size: 0
    .sgpr_count:     23
    .sgpr_spill_count: 0
    .symbol:         fft_rtc_fwd_len572_factors_13_11_4_wgs_52_tpt_52_half_ip_CI_unitstride_sbrr_C2R_dirReg.kd
    .uniform_work_group_size: 1
    .uses_dynamic_stack: false
    .vgpr_count:     126
    .vgpr_spill_count: 0
    .wavefront_size: 32
    .workgroup_processor_mode: 1
amdhsa.target:   amdgcn-amd-amdhsa--gfx1030
amdhsa.version:
  - 1
  - 2
...

	.end_amdgpu_metadata
